;; amdgpu-corpus repo=zjin-lcf/HeCBench kind=compiled arch=gfx1100 opt=O3
	.text
	.amdgcn_target "amdgcn-amd-amdhsa--gfx1100"
	.amdhsa_code_object_version 6
	.protected	_Z7bsplinePKflllPfS1_S1_S0_S0_S0_S0_S0_S0_S0_S0_S0_fffiiiii ; -- Begin function _Z7bsplinePKflllPfS1_S1_S0_S0_S0_S0_S0_S0_S0_S0_S0_fffiiiii
	.globl	_Z7bsplinePKflllPfS1_S1_S0_S0_S0_S0_S0_S0_S0_S0_S0_fffiiiii
	.p2align	8
	.type	_Z7bsplinePKflllPfS1_S1_S0_S0_S0_S0_S0_S0_S0_S0_S0_fffiiiii,@function
_Z7bsplinePKflllPfS1_S1_S0_S0_S0_S0_S0_S0_S0_S0_S0_fffiiiii: ; @_Z7bsplinePKflllPfS1_S1_S0_S0_S0_S0_S0_S0_S0_S0_S0_fffiiiii
; %bb.0:
	s_clause 0x1
	s_load_b32 s2, s[0:1], 0xac
	s_load_b256 s[4:11], s[0:1], 0x80
	s_waitcnt lgkmcnt(0)
	s_and_b32 s2, s2, 0xffff
	s_delay_alu instid0(SALU_CYCLE_1) | instskip(SKIP_1) | instid1(VALU_DEP_1)
	v_mad_u64_u32 v[1:2], null, s15, s2, v[0:1]
	s_mov_b32 s2, exec_lo
	v_cmpx_gt_i32_e64 s7, v1
	s_cbranch_execz .LBB0_4
; %bb.1:
	s_clause 0x5
	s_load_b256 s[20:27], s[0:1], 0x8
	s_load_b64 s[34:35], s[0:1], 0x0
	s_load_b64 s[48:49], s[0:1], 0x78
	s_load_b128 s[28:31], s[0:1], 0x68
	s_load_b256 s[36:43], s[0:1], 0x48
	s_load_b256 s[12:19], s[0:1], 0x28
	s_ashr_i32 s0, s9, 31
	s_mov_b32 s56, s10
	s_mov_b32 s52, s11
	v_ashrrev_i32_e32 v2, 31, v1
	v_dual_mov_b32 v0, 0 :: v_dual_mov_b32 v11, 0
	v_dual_mov_b32 v10, 0 :: v_dual_mov_b32 v7, 0
	s_delay_alu instid0(VALU_DEP_3)
	v_lshlrev_b64 v[2:3], 2, v[1:2]
	v_dual_mov_b32 v12, 0 :: v_dual_mov_b32 v9, 0
	v_dual_mov_b32 v8, 0 :: v_dual_mov_b32 v5, 0
	v_mov_b32_e32 v4, 0
	s_waitcnt lgkmcnt(0)
	s_mul_i32 s1, s9, s21
	s_mul_hi_u32 s2, s9, s20
	s_mul_i32 s3, s0, s20
	s_add_i32 s1, s2, s1
	s_mul_i32 s0, s9, s20
	s_add_i32 s1, s1, s3
	s_mul_i32 s2, s10, s23
	s_lshl_b64 s[58:59], s[0:1], 2
	s_mul_hi_u32 s3, s10, s22
	s_add_u32 s7, s34, s58
	s_addc_u32 s9, s35, s59
	s_ashr_i32 s57, s10, 31
	s_add_i32 s1, s3, s2
	s_mul_i32 s2, s57, s22
	s_mul_i32 s0, s10, s22
	s_add_i32 s1, s1, s2
	s_mul_i32 s3, s11, s25
	s_lshl_b64 s[54:55], s[0:1], 2
	s_mul_hi_u32 s2, s11, s24
	s_add_u32 s7, s7, s54
	s_addc_u32 s9, s9, s55
	s_ashr_i32 s53, s11, 31
	s_mul_i32 s10, s11, s24
	s_add_i32 s11, s2, s3
	s_mul_i32 s33, s53, s24
	s_load_b128 s[44:47], s[42:43], 0x0
	s_add_i32 s11, s11, s33
	s_load_b128 s[0:3], s[36:37], 0x0
	s_lshl_b64 s[66:67], s[10:11], 2
	s_load_b128 s[48:51], s[48:49], 0x0
	s_add_u32 s7, s7, s66
	s_addc_u32 s9, s9, s67
	s_lshl_b64 s[10:11], s[20:21], 2
	s_add_u32 s42, s54, s58
	s_addc_u32 s43, s55, s59
	s_lshl_b64 s[20:21], s[52:53], 2
	s_load_b128 s[52:55], s[18:19], 0x0
	s_add_u32 s18, s20, 8
	s_addc_u32 s19, s21, 0
	s_mul_hi_u32 s33, s24, s18
	s_mul_i32 s19, s24, s19
	s_mul_i32 s36, s25, s18
	s_add_i32 s19, s33, s19
	s_mul_i32 s77, s24, s18
	s_add_i32 s78, s19, s36
	s_add_u32 s18, s42, s77
	s_addc_u32 s19, s43, s78
	s_add_u32 s33, s34, s18
	s_addc_u32 s36, s35, s19
	s_add_u32 s18, s20, 4
	s_addc_u32 s19, s21, 0
	s_mul_hi_u32 s37, s24, s18
	s_mul_i32 s19, s24, s19
	s_mul_i32 s60, s25, s18
	s_add_i32 s19, s37, s19
	s_mul_i32 s79, s24, s18
	s_add_i32 s80, s19, s60
	s_add_u32 s18, s42, s79
	s_addc_u32 s19, s43, s80
	s_add_u32 s37, s34, s18
	s_addc_u32 s60, s35, s19
	;; [unrolled: 12-line block ×3, first 2 shown]
	s_add_u32 s81, s58, s18
	s_addc_u32 s82, s59, s19
	s_lshl_b64 s[18:19], s[56:57], 2
	s_load_b128 s[40:43], s[40:41], 0x0
	s_add_u32 s20, s18, 8
	s_addc_u32 s21, s19, 0
	s_mul_hi_u32 s56, s22, s20
	s_mul_i32 s21, s22, s21
	s_mul_i32 s57, s23, s20
	s_add_i32 s21, s56, s21
	s_mul_i32 s20, s22, s20
	s_add_i32 s21, s21, s57
	s_add_u32 s56, s81, s20
	s_addc_u32 s57, s82, s21
	s_add_u32 s56, s34, s56
	s_addc_u32 s57, s35, s57
	;; [unrolled: 2-line block ×12, first 2 shown]
	s_mul_hi_u32 s67, s22, s20
	s_mul_i32 s21, s22, s21
	s_mul_i32 s68, s23, s20
	s_add_i32 s21, s67, s21
	s_mul_i32 s20, s22, s20
	s_add_i32 s21, s21, s68
	s_add_u32 s67, s75, s20
	s_addc_u32 s68, s76, s21
	s_add_u32 s67, s34, s67
	s_addc_u32 s68, s35, s68
	;; [unrolled: 2-line block ×9, first 2 shown]
	s_mul_hi_u32 s20, s22, s18
	s_mul_i32 s19, s22, s19
	s_mul_i32 s21, s23, s18
	s_add_i32 s19, s20, s19
	s_mul_i32 s18, s22, s18
	s_add_i32 s19, s19, s21
	s_add_u32 s20, s75, s18
	s_addc_u32 s21, s76, s19
	s_add_u32 s75, s34, s20
	s_addc_u32 s76, s35, s21
	s_load_b128 s[20:23], s[30:31], 0x0
	s_add_u32 s58, s58, s18
	s_addc_u32 s59, s59, s19
	s_add_u32 s30, s58, s77
	s_addc_u32 s31, s59, s78
	;; [unrolled: 2-line block ×5, first 2 shown]
	s_add_u32 s18, s81, s18
	v_mov_b32_e32 v6, 0
	s_addc_u32 s19, s82, s19
	s_add_u32 s34, s34, s18
	s_addc_u32 s35, s35, s19
	s_mov_b64 s[18:19], 0
.LBB0_2:                                ; =>This Inner Loop Header: Depth=1
	v_add_co_u32 v13, vcc_lo, s7, v2
	v_add_co_ci_u32_e32 v14, vcc_lo, s9, v3, vcc_lo
	v_add_co_u32 v15, vcc_lo, s37, v2
	v_add_co_ci_u32_e32 v16, vcc_lo, s60, v3, vcc_lo
	v_add_co_u32 v17, vcc_lo, s33, v2
	v_add_co_ci_u32_e32 v18, vcc_lo, s36, v3, vcc_lo
	v_add_co_u32 v19, vcc_lo, s24, v2
	v_add_co_ci_u32_e32 v20, vcc_lo, s25, v3, vcc_lo
	v_add_co_u32 v21, vcc_lo, s67, v2
	v_add_co_ci_u32_e32 v22, vcc_lo, s68, v3, vcc_lo
	v_add_co_u32 v23, vcc_lo, s71, v2
	v_add_co_ci_u32_e32 v24, vcc_lo, s72, v3, vcc_lo
	v_add_co_u32 v25, vcc_lo, s69, v2
	v_add_co_ci_u32_e32 v26, vcc_lo, s70, v3, vcc_lo
	v_add_co_u32 v27, vcc_lo, s73, v2
	v_add_co_ci_u32_e32 v28, vcc_lo, s74, v3, vcc_lo
	v_add_co_u32 v29, vcc_lo, s65, v2
	v_add_co_ci_u32_e32 v30, vcc_lo, s66, v3, vcc_lo
	v_add_co_u32 v31, vcc_lo, s63, v2
	v_add_co_ci_u32_e32 v32, vcc_lo, s64, v3, vcc_lo
	v_add_co_u32 v33, vcc_lo, s61, v2
	v_add_co_ci_u32_e32 v34, vcc_lo, s62, v3, vcc_lo
	v_add_co_u32 v35, vcc_lo, s56, v2
	v_add_co_ci_u32_e32 v36, vcc_lo, s57, v3, vcc_lo
	v_add_co_u32 v37, vcc_lo, s75, v2
	v_add_co_ci_u32_e32 v38, vcc_lo, s76, v3, vcc_lo
	v_add_co_u32 v39, vcc_lo, s58, v2
	v_add_co_ci_u32_e32 v40, vcc_lo, s59, v3, vcc_lo
	v_add_co_u32 v41, vcc_lo, s30, v2
	v_add_co_ci_u32_e32 v42, vcc_lo, s31, v3, vcc_lo
	v_add_co_u32 v43, vcc_lo, s34, v2
	v_add_co_ci_u32_e32 v44, vcc_lo, s35, v3, vcc_lo
	global_load_b32 v15, v[15:16], off
	global_load_b32 v16, v[23:24], off
	;; [unrolled: 1-line block ×16, first 2 shown]
	s_add_u32 s78, s28, s18
	s_addc_u32 s79, s29, s19
	s_add_u32 s80, s38, s18
	s_addc_u32 s81, s39, s19
	s_load_b32 s77, s[78:79], 0x0
	s_add_u32 s78, s16, s18
	s_addc_u32 s79, s17, s19
	s_load_b32 s80, s[80:81], 0x0
	s_load_b32 s78, s[78:79], 0x0
	s_add_u32 s18, s18, 4
	s_addc_u32 s19, s19, 0
	s_add_u32 s7, s7, s10
	s_addc_u32 s9, s9, s11
	;; [unrolled: 2-line block ×7, first 2 shown]
	s_add_u32 s63, s63, s10
	s_waitcnt lgkmcnt(0)
	v_mul_f32_e64 v29, s52, s77
	s_addc_u32 s64, s64, s11
	s_add_u32 s65, s65, s10
	v_mul_f32_e64 v33, s52, s80
	v_mul_f32_e64 v34, s40, s80
	;; [unrolled: 1-line block ×14, first 2 shown]
	s_addc_u32 s66, s66, s11
	s_add_u32 s67, s67, s10
	s_addc_u32 s68, s68, s11
	s_add_u32 s69, s69, s10
	v_mul_f32_e64 v31, s54, s77
	v_mul_f32_e64 v38, s42, s80
	;; [unrolled: 1-line block ×5, first 2 shown]
	s_addc_u32 s70, s70, s11
	s_add_u32 s71, s71, s10
	s_addc_u32 s72, s72, s11
	s_add_u32 s73, s73, s10
	s_addc_u32 s74, s74, s11
	v_mul_f32_e64 v32, s55, s77
	v_mul_f32_e64 v40, s43, s80
	;; [unrolled: 1-line block ×4, first 2 shown]
	s_add_u32 s75, s75, s10
	s_addc_u32 s76, s76, s11
	s_add_u32 s30, s30, s10
	s_addc_u32 s31, s31, s11
	;; [unrolled: 2-line block ×4, first 2 shown]
	s_cmp_lg_u32 s18, 16
	s_waitcnt vmcnt(14)
	v_dual_mul_f32 v53, s1, v15 :: v_dual_mul_f32 v56, s45, v16
	v_dual_mul_f32 v54, s45, v15 :: v_dual_mul_f32 v55, s1, v16
	;; [unrolled: 1-line block ×3, first 2 shown]
	s_waitcnt vmcnt(10)
	s_delay_alu instid0(VALU_DEP_3) | instskip(NEXT) | instid1(VALU_DEP_3)
	v_dual_fmac_f32 v53, s0, v13 :: v_dual_fmac_f32 v56, s44, v14
	v_dual_fmac_f32 v54, s44, v13 :: v_dual_fmac_f32 v55, s0, v14
	s_delay_alu instid0(VALU_DEP_3)
	v_dual_fmac_f32 v15, s48, v13 :: v_dual_fmac_f32 v16, s48, v14
	v_dual_mul_f32 v57, s1, v23 :: v_dual_mul_f32 v60, s45, v24
	v_dual_mul_f32 v58, s45, v23 :: v_dual_mul_f32 v59, s1, v24
	;; [unrolled: 1-line block ×3, first 2 shown]
	s_waitcnt vmcnt(6)
	v_dual_fmac_f32 v53, s2, v17 :: v_dual_fmac_f32 v56, s46, v18
	v_dual_fmac_f32 v54, s46, v17 :: v_dual_fmac_f32 v55, s2, v18
	;; [unrolled: 1-line block ×6, first 2 shown]
	s_waitcnt vmcnt(2)
	v_dual_fmac_f32 v53, s3, v19 :: v_dual_fmac_f32 v56, s47, v20
	v_dual_fmac_f32 v54, s47, v19 :: v_dual_fmac_f32 v55, s3, v20
	;; [unrolled: 1-line block ×9, first 2 shown]
	s_waitcnt vmcnt(0)
	v_dual_fmac_f32 v57, s3, v27 :: v_dual_fmac_f32 v60, s47, v28
	v_dual_fmac_f32 v58, s47, v27 :: v_dual_fmac_f32 v59, s3, v28
	;; [unrolled: 1-line block ×7, first 2 shown]
	s_delay_alu instid0(VALU_DEP_4) | instskip(NEXT) | instid1(VALU_DEP_4)
	v_dual_fmac_f32 v10, v30, v55 :: v_dual_fmac_f32 v9, v45, v56
	v_dual_fmac_f32 v12, v36, v55 :: v_dual_fmac_f32 v11, v37, v58
	s_delay_alu instid0(VALU_DEP_4)
	v_dual_fmac_f32 v4, v35, v55 :: v_dual_fmac_f32 v7, v49, v57
	v_fmac_f32_e32 v0, v44, v55
	v_dual_fmac_f32 v8, v47, v23 :: v_dual_fmac_f32 v5, v48, v57
	v_fmac_f32_e32 v6, v44, v56
	v_dual_fmac_f32 v10, v31, v57 :: v_dual_fmac_f32 v9, v48, v58
	v_dual_fmac_f32 v12, v38, v57 :: v_dual_fmac_f32 v7, v52, v59
	;; [unrolled: 1-line block ×3, first 2 shown]
	s_delay_alu instid0(VALU_DEP_3)
	v_fmac_f32_e32 v9, v51, v60
	v_fmac_f32_e32 v0, v47, v57
	;; [unrolled: 1-line block ×10, first 2 shown]
	s_cbranch_scc1 .LBB0_2
; %bb.3:
	s_mul_i32 s0, s8, 0x7d3
	v_lshl_add_u32 v13, v1, 1, v1
	s_ashr_i32 s1, s0, 31
	v_lshl_add_u32 v15, v1, 3, v1
	s_lshl_b64 s[0:1], s[0:1], 2
	s_mul_i32 s2, s8, 0x177c
	s_add_u32 s7, s26, s0
	v_ashrrev_i32_e32 v14, 31, v13
	v_ashrrev_i32_e32 v16, 31, v15
	s_addc_u32 s9, s27, s1
	v_add_co_u32 v17, vcc_lo, s7, v2
	s_ashr_i32 s3, s2, 31
	s_mul_i32 s0, s8, 0x4674
	v_add_co_ci_u32_e32 v18, vcc_lo, s9, v3, vcc_lo
	v_dual_mul_f32 v3, s4, v12 :: v_dual_mul_f32 v10, s4, v10
	s_lshl_b64 s[2:3], s[2:3], 2
	s_ashr_i32 s1, s0, 31
	v_lshlrev_b64 v[1:2], 2, v[13:14]
	v_lshlrev_b64 v[13:14], 2, v[15:16]
	s_add_u32 s2, s12, s2
	s_addc_u32 s3, s13, s3
	s_lshl_b64 s[0:1], s[0:1], 2
	v_mul_f32_e32 v12, s5, v3
	v_mul_f32_e32 v3, s4, v11
	s_add_u32 s0, s14, s0
	s_addc_u32 s1, s15, s1
	v_add_co_u32 v15, vcc_lo, s0, v13
	v_add_co_ci_u32_e32 v16, vcc_lo, s1, v14, vcc_lo
	v_dual_mul_f32 v11, s4, v10 :: v_dual_mov_b32 v14, v12
	v_dual_mul_f32 v13, s6, v3 :: v_dual_mul_f32 v10, s6, v8
	v_mul_f32_e32 v3, s5, v9
	v_mul_f32_e32 v7, s5, v7
	v_add_co_u32 v8, vcc_lo, s2, v1
	s_delay_alu instid0(VALU_DEP_4) | instskip(SKIP_4) | instid1(VALU_DEP_3)
	v_mul_f32_e32 v10, s6, v10
	global_store_b128 v[15:16], v[11:14], off
	v_dual_mul_f32 v12, s6, v3 :: v_dual_mul_f32 v1, s4, v4
	v_add_co_ci_u32_e32 v9, vcc_lo, s3, v2, vcc_lo
	v_dual_mul_f32 v2, s5, v5 :: v_dual_mul_f32 v3, s6, v6
	v_dual_mov_b32 v14, v12 :: v_dual_mul_f32 v11, s5, v7
	global_store_b32 v[17:18], v0, off
	global_store_b96 v[8:9], v[1:3], off
	s_clause 0x1
	global_store_b128 v[15:16], v[11:14], off offset:16
	global_store_b32 v[15:16], v10, off offset:32
.LBB0_4:
	s_nop 0
	s_sendmsg sendmsg(MSG_DEALLOC_VGPRS)
	s_endpgm
	.section	.rodata,"a",@progbits
	.p2align	6, 0x0
	.amdhsa_kernel _Z7bsplinePKflllPfS1_S1_S0_S0_S0_S0_S0_S0_S0_S0_S0_fffiiiii
		.amdhsa_group_segment_fixed_size 0
		.amdhsa_private_segment_fixed_size 0
		.amdhsa_kernarg_size 416
		.amdhsa_user_sgpr_count 15
		.amdhsa_user_sgpr_dispatch_ptr 0
		.amdhsa_user_sgpr_queue_ptr 0
		.amdhsa_user_sgpr_kernarg_segment_ptr 1
		.amdhsa_user_sgpr_dispatch_id 0
		.amdhsa_user_sgpr_private_segment_size 0
		.amdhsa_wavefront_size32 1
		.amdhsa_uses_dynamic_stack 0
		.amdhsa_enable_private_segment 0
		.amdhsa_system_sgpr_workgroup_id_x 1
		.amdhsa_system_sgpr_workgroup_id_y 0
		.amdhsa_system_sgpr_workgroup_id_z 0
		.amdhsa_system_sgpr_workgroup_info 0
		.amdhsa_system_vgpr_workitem_id 0
		.amdhsa_next_free_vgpr 61
		.amdhsa_next_free_sgpr 83
		.amdhsa_reserve_vcc 1
		.amdhsa_float_round_mode_32 0
		.amdhsa_float_round_mode_16_64 0
		.amdhsa_float_denorm_mode_32 3
		.amdhsa_float_denorm_mode_16_64 3
		.amdhsa_dx10_clamp 1
		.amdhsa_ieee_mode 1
		.amdhsa_fp16_overflow 0
		.amdhsa_workgroup_processor_mode 1
		.amdhsa_memory_ordered 1
		.amdhsa_forward_progress 0
		.amdhsa_shared_vgpr_count 0
		.amdhsa_exception_fp_ieee_invalid_op 0
		.amdhsa_exception_fp_denorm_src 0
		.amdhsa_exception_fp_ieee_div_zero 0
		.amdhsa_exception_fp_ieee_overflow 0
		.amdhsa_exception_fp_ieee_underflow 0
		.amdhsa_exception_fp_ieee_inexact 0
		.amdhsa_exception_int_div_zero 0
	.end_amdhsa_kernel
	.text
.Lfunc_end0:
	.size	_Z7bsplinePKflllPfS1_S1_S0_S0_S0_S0_S0_S0_S0_S0_S0_fffiiiii, .Lfunc_end0-_Z7bsplinePKflllPfS1_S1_S0_S0_S0_S0_S0_S0_S0_S0_S0_fffiiiii
                                        ; -- End function
	.section	.AMDGPU.csdata,"",@progbits
; Kernel info:
; codeLenInByte = 2220
; NumSgprs: 85
; NumVgprs: 61
; ScratchSize: 0
; MemoryBound: 0
; FloatMode: 240
; IeeeMode: 1
; LDSByteSize: 0 bytes/workgroup (compile time only)
; SGPRBlocks: 10
; VGPRBlocks: 7
; NumSGPRsForWavesPerEU: 85
; NumVGPRsForWavesPerEU: 61
; Occupancy: 16
; WaveLimiterHint : 0
; COMPUTE_PGM_RSRC2:SCRATCH_EN: 0
; COMPUTE_PGM_RSRC2:USER_SGPR: 15
; COMPUTE_PGM_RSRC2:TRAP_HANDLER: 0
; COMPUTE_PGM_RSRC2:TGID_X_EN: 1
; COMPUTE_PGM_RSRC2:TGID_Y_EN: 0
; COMPUTE_PGM_RSRC2:TGID_Z_EN: 0
; COMPUTE_PGM_RSRC2:TIDIG_COMP_CNT: 0
	.text
	.p2alignl 7, 3214868480
	.fill 96, 4, 3214868480
	.type	__hip_cuid_5c0c8191203b6b53,@object ; @__hip_cuid_5c0c8191203b6b53
	.section	.bss,"aw",@nobits
	.globl	__hip_cuid_5c0c8191203b6b53
__hip_cuid_5c0c8191203b6b53:
	.byte	0                               ; 0x0
	.size	__hip_cuid_5c0c8191203b6b53, 1

	.ident	"AMD clang version 19.0.0git (https://github.com/RadeonOpenCompute/llvm-project roc-6.4.0 25133 c7fe45cf4b819c5991fe208aaa96edf142730f1d)"
	.section	".note.GNU-stack","",@progbits
	.addrsig
	.addrsig_sym __hip_cuid_5c0c8191203b6b53
	.amdgpu_metadata
---
amdhsa.kernels:
  - .args:
      - .actual_access:  read_only
        .address_space:  global
        .offset:         0
        .size:           8
        .value_kind:     global_buffer
      - .offset:         8
        .size:           8
        .value_kind:     by_value
      - .offset:         16
        .size:           8
        .value_kind:     by_value
      - .offset:         24
        .size:           8
        .value_kind:     by_value
      - .actual_access:  write_only
        .address_space:  global
        .offset:         32
        .size:           8
        .value_kind:     global_buffer
      - .actual_access:  write_only
        .address_space:  global
        .offset:         40
        .size:           8
        .value_kind:     global_buffer
      - .actual_access:  write_only
        .address_space:  global
        .offset:         48
        .size:           8
        .value_kind:     global_buffer
      - .actual_access:  read_only
        .address_space:  global
        .offset:         56
        .size:           8
        .value_kind:     global_buffer
      - .actual_access:  read_only
        .address_space:  global
        .offset:         64
        .size:           8
        .value_kind:     global_buffer
      - .actual_access:  read_only
        .address_space:  global
        .offset:         72
        .size:           8
        .value_kind:     global_buffer
      - .actual_access:  read_only
        .address_space:  global
        .offset:         80
        .size:           8
        .value_kind:     global_buffer
      - .actual_access:  read_only
        .address_space:  global
        .offset:         88
        .size:           8
        .value_kind:     global_buffer
      - .actual_access:  read_only
        .address_space:  global
        .offset:         96
        .size:           8
        .value_kind:     global_buffer
      - .actual_access:  read_only
        .address_space:  global
        .offset:         104
        .size:           8
        .value_kind:     global_buffer
      - .actual_access:  read_only
        .address_space:  global
        .offset:         112
        .size:           8
        .value_kind:     global_buffer
      - .actual_access:  read_only
        .address_space:  global
        .offset:         120
        .size:           8
        .value_kind:     global_buffer
      - .offset:         128
        .size:           4
        .value_kind:     by_value
      - .offset:         132
        .size:           4
        .value_kind:     by_value
      - .offset:         136
        .size:           4
        .value_kind:     by_value
      - .offset:         140
        .size:           4
        .value_kind:     by_value
      - .offset:         144
        .size:           4
        .value_kind:     by_value
      - .offset:         148
        .size:           4
        .value_kind:     by_value
      - .offset:         152
        .size:           4
        .value_kind:     by_value
      - .offset:         156
        .size:           4
        .value_kind:     by_value
      - .offset:         160
        .size:           4
        .value_kind:     hidden_block_count_x
      - .offset:         164
        .size:           4
        .value_kind:     hidden_block_count_y
      - .offset:         168
        .size:           4
        .value_kind:     hidden_block_count_z
      - .offset:         172
        .size:           2
        .value_kind:     hidden_group_size_x
      - .offset:         174
        .size:           2
        .value_kind:     hidden_group_size_y
      - .offset:         176
        .size:           2
        .value_kind:     hidden_group_size_z
      - .offset:         178
        .size:           2
        .value_kind:     hidden_remainder_x
      - .offset:         180
        .size:           2
        .value_kind:     hidden_remainder_y
      - .offset:         182
        .size:           2
        .value_kind:     hidden_remainder_z
      - .offset:         200
        .size:           8
        .value_kind:     hidden_global_offset_x
      - .offset:         208
        .size:           8
        .value_kind:     hidden_global_offset_y
      - .offset:         216
        .size:           8
        .value_kind:     hidden_global_offset_z
      - .offset:         224
        .size:           2
        .value_kind:     hidden_grid_dims
    .group_segment_fixed_size: 0
    .kernarg_segment_align: 8
    .kernarg_segment_size: 416
    .language:       OpenCL C
    .language_version:
      - 2
      - 0
    .max_flat_workgroup_size: 1024
    .name:           _Z7bsplinePKflllPfS1_S1_S0_S0_S0_S0_S0_S0_S0_S0_S0_fffiiiii
    .private_segment_fixed_size: 0
    .sgpr_count:     85
    .sgpr_spill_count: 0
    .symbol:         _Z7bsplinePKflllPfS1_S1_S0_S0_S0_S0_S0_S0_S0_S0_S0_fffiiiii.kd
    .uniform_work_group_size: 1
    .uses_dynamic_stack: false
    .vgpr_count:     61
    .vgpr_spill_count: 0
    .wavefront_size: 32
    .workgroup_processor_mode: 1
amdhsa.target:   amdgcn-amd-amdhsa--gfx1100
amdhsa.version:
  - 1
  - 2
...

	.end_amdgpu_metadata
